;; amdgpu-corpus repo=ROCm/rocFFT kind=compiled arch=gfx1030 opt=O3
	.text
	.amdgcn_target "amdgcn-amd-amdhsa--gfx1030"
	.amdhsa_code_object_version 6
	.protected	fft_rtc_fwd_len160_factors_4_10_4_wgs_192_tpt_16_dp_op_CI_CI_sbcc_dirReg ; -- Begin function fft_rtc_fwd_len160_factors_4_10_4_wgs_192_tpt_16_dp_op_CI_CI_sbcc_dirReg
	.globl	fft_rtc_fwd_len160_factors_4_10_4_wgs_192_tpt_16_dp_op_CI_CI_sbcc_dirReg
	.p2align	8
	.type	fft_rtc_fwd_len160_factors_4_10_4_wgs_192_tpt_16_dp_op_CI_CI_sbcc_dirReg,@function
fft_rtc_fwd_len160_factors_4_10_4_wgs_192_tpt_16_dp_op_CI_CI_sbcc_dirReg: ; @fft_rtc_fwd_len160_factors_4_10_4_wgs_192_tpt_16_dp_op_CI_CI_sbcc_dirReg
; %bb.0:
	s_clause 0x1
	s_load_dwordx4 s[0:3], s[4:5], 0x18
	s_load_dwordx2 s[26:27], s[4:5], 0x28
	s_mov_b64 s[22:23], 0
	s_waitcnt lgkmcnt(0)
	s_load_dwordx2 s[20:21], s[0:1], 0x8
	s_waitcnt lgkmcnt(0)
	s_add_u32 s7, s20, -1
	s_addc_u32 s8, s21, -1
	s_add_u32 s9, 0, 0x55540000
	s_addc_u32 s10, 0, 0x55
	s_mul_hi_u32 s12, s9, -12
	s_add_i32 s10, s10, 0x15555500
	s_sub_i32 s12, s12, s9
	s_mul_i32 s14, s10, -12
	s_mul_i32 s11, s9, -12
	s_add_i32 s12, s12, s14
	s_mul_hi_u32 s13, s9, s11
	s_mul_i32 s16, s9, s12
	s_mul_hi_u32 s14, s9, s12
	s_mul_hi_u32 s15, s10, s11
	s_mul_i32 s11, s10, s11
	s_add_u32 s13, s13, s16
	s_addc_u32 s14, 0, s14
	s_mul_hi_u32 s17, s10, s12
	s_add_u32 s11, s13, s11
	s_mul_i32 s12, s10, s12
	s_addc_u32 s11, s14, s15
	s_addc_u32 s13, s17, 0
	s_add_u32 s11, s11, s12
	v_add_co_u32 v1, s9, s9, s11
	s_addc_u32 s11, 0, s13
	s_cmp_lg_u32 s9, 0
	s_addc_u32 s9, s10, s11
	v_readfirstlane_b32 s10, v1
	s_mul_i32 s12, s7, s9
	s_mul_hi_u32 s11, s7, s9
	s_mul_hi_u32 s13, s8, s9
	s_mul_i32 s9, s8, s9
	s_mul_hi_u32 s14, s7, s10
	s_mul_hi_u32 s15, s8, s10
	s_mul_i32 s10, s8, s10
	s_add_u32 s12, s14, s12
	s_addc_u32 s11, 0, s11
	s_add_u32 s10, s12, s10
	s_addc_u32 s10, s11, s15
	s_addc_u32 s11, s13, 0
	s_add_u32 s9, s10, s9
	s_addc_u32 s10, 0, s11
	s_mul_i32 s12, s9, 12
	s_add_u32 s11, s9, 1
	v_sub_co_u32 v1, s7, s7, s12
	s_mul_hi_u32 s12, s9, 12
	s_addc_u32 s13, s10, 0
	s_mul_i32 s14, s10, 12
	v_sub_co_u32 v2, s15, v1, 12
	s_add_u32 s16, s9, 2
	s_addc_u32 s17, s10, 0
	s_add_i32 s12, s12, s14
	s_cmp_lg_u32 s7, 0
	v_readfirstlane_b32 s7, v2
	s_subb_u32 s8, s8, s12
	s_cmp_lg_u32 s15, 0
	s_subb_u32 s12, s8, 0
	s_cmp_gt_u32 s7, 11
	s_cselect_b32 s7, -1, 0
	s_cmp_eq_u32 s12, 0
	v_readfirstlane_b32 s12, v1
	s_cselect_b32 s7, s7, -1
	s_cmp_lg_u32 s7, 0
	s_cselect_b32 s11, s16, s11
	s_cselect_b32 s13, s17, s13
	s_cmp_gt_u32 s12, 11
	s_cselect_b32 s7, -1, 0
	s_cmp_eq_u32 s8, 0
	s_cselect_b32 s7, s7, -1
	s_cmp_lg_u32 s7, 0
	s_mov_b32 s7, 0
	s_cselect_b32 s8, s11, s9
	s_cselect_b32 s9, s13, s10
	s_add_u32 s28, s8, 1
	s_addc_u32 s29, s9, 0
	v_cmp_lt_u64_e64 s8, s[6:7], s[28:29]
	s_and_b32 vcc_lo, exec_lo, s8
	s_cbranch_vccnz .LBB0_2
; %bb.1:
	v_cvt_f32_u32_e32 v1, s28
	s_sub_i32 s9, 0, s28
	s_mov_b32 s23, s7
	v_rcp_iflag_f32_e32 v1, v1
	v_mul_f32_e32 v1, 0x4f7ffffe, v1
	v_cvt_u32_f32_e32 v1, v1
	v_readfirstlane_b32 s8, v1
	s_mul_i32 s9, s9, s8
	s_mul_hi_u32 s9, s8, s9
	s_add_i32 s8, s8, s9
	s_mul_hi_u32 s8, s6, s8
	s_mul_i32 s9, s8, s28
	s_add_i32 s10, s8, 1
	s_sub_i32 s9, s6, s9
	s_sub_i32 s11, s9, s28
	s_cmp_ge_u32 s9, s28
	s_cselect_b32 s8, s10, s8
	s_cselect_b32 s9, s11, s9
	s_add_i32 s10, s8, 1
	s_cmp_ge_u32 s9, s28
	s_cselect_b32 s22, s10, s8
.LBB0_2:
	s_load_dwordx4 s[16:19], s[2:3], 0x0
	s_load_dwordx4 s[8:11], s[26:27], 0x0
	s_clause 0x1
	s_load_dwordx2 s[30:31], s[4:5], 0x10
	s_load_dwordx2 s[24:25], s[4:5], 0x0
	s_mul_i32 s12, s22, s29
	s_mul_hi_u32 s13, s22, s28
	s_mul_i32 s14, s22, s28
	s_add_i32 s13, s13, s12
	s_sub_u32 s44, s6, s14
	s_subb_u32 s12, 0, s13
	s_mul_hi_u32 s33, s44, 12
	s_mul_i32 s34, s12, 12
	s_load_dwordx4 s[12:15], s[4:5], 0x60
	s_add_i32 s33, s33, s34
	s_mul_i32 s44, s44, 12
	s_waitcnt lgkmcnt(0)
	s_mul_i32 s4, s18, s33
	s_mul_hi_u32 s5, s18, s44
	v_cmp_lt_u64_e64 s38, s[30:31], 3
	s_mul_i32 s35, s10, s33
	s_mul_hi_u32 s36, s10, s44
	s_mul_i32 s34, s19, s44
	s_mul_i32 s37, s11, s44
	s_add_i32 s4, s5, s4
	s_add_i32 s5, s36, s35
	;; [unrolled: 1-line block ×3, first 2 shown]
	s_mul_i32 s48, s18, s44
	s_add_i32 s45, s5, s37
	s_and_b32 vcc_lo, exec_lo, s38
	s_mul_i32 s46, s10, s44
	s_cbranch_vccnz .LBB0_12
; %bb.3:
	s_add_u32 s4, s26, 16
	s_addc_u32 s5, s27, 0
	s_add_u32 s34, s2, 16
	s_addc_u32 s35, s3, 0
	;; [unrolled: 2-line block ×3, first 2 shown]
	s_mov_b64 s[36:37], 2
	s_mov_b32 s38, 0
.LBB0_4:                                ; =>This Inner Loop Header: Depth=1
	s_load_dwordx2 s[40:41], s[0:1], 0x0
	s_waitcnt lgkmcnt(0)
	s_or_b64 s[42:43], s[22:23], s[40:41]
	s_mov_b32 s39, s43
                                        ; implicit-def: $sgpr42_sgpr43
	s_cmp_lg_u64 s[38:39], 0
	s_mov_b32 s39, -1
	s_cbranch_scc0 .LBB0_6
; %bb.5:                                ;   in Loop: Header=BB0_4 Depth=1
	v_cvt_f32_u32_e32 v1, s40
	v_cvt_f32_u32_e32 v2, s41
	s_sub_u32 s43, 0, s40
	s_subb_u32 s49, 0, s41
	v_fmac_f32_e32 v1, 0x4f800000, v2
	v_rcp_f32_e32 v1, v1
	v_mul_f32_e32 v1, 0x5f7ffffc, v1
	v_mul_f32_e32 v2, 0x2f800000, v1
	v_trunc_f32_e32 v2, v2
	v_fmac_f32_e32 v1, 0xcf800000, v2
	v_cvt_u32_f32_e32 v2, v2
	v_cvt_u32_f32_e32 v1, v1
	v_readfirstlane_b32 s39, v2
	v_readfirstlane_b32 s42, v1
	s_mul_i32 s50, s43, s39
	s_mul_hi_u32 s52, s43, s42
	s_mul_i32 s51, s49, s42
	s_add_i32 s50, s52, s50
	s_mul_i32 s53, s43, s42
	s_add_i32 s50, s50, s51
	s_mul_hi_u32 s52, s42, s53
	s_mul_hi_u32 s54, s39, s53
	s_mul_i32 s51, s39, s53
	s_mul_hi_u32 s53, s42, s50
	s_mul_i32 s42, s42, s50
	s_mul_hi_u32 s55, s39, s50
	s_add_u32 s42, s52, s42
	s_addc_u32 s52, 0, s53
	s_add_u32 s42, s42, s51
	s_mul_i32 s50, s39, s50
	s_addc_u32 s42, s52, s54
	s_addc_u32 s51, s55, 0
	s_add_u32 s42, s42, s50
	s_addc_u32 s50, 0, s51
	v_add_co_u32 v1, s42, v1, s42
	s_cmp_lg_u32 s42, 0
	s_addc_u32 s39, s39, s50
	v_readfirstlane_b32 s42, v1
	s_mul_i32 s50, s43, s39
	s_mul_hi_u32 s51, s43, s42
	s_mul_i32 s49, s49, s42
	s_add_i32 s50, s51, s50
	s_mul_i32 s43, s43, s42
	s_add_i32 s50, s50, s49
	s_mul_hi_u32 s51, s39, s43
	s_mul_i32 s52, s39, s43
	s_mul_hi_u32 s43, s42, s43
	s_mul_hi_u32 s53, s42, s50
	s_mul_i32 s42, s42, s50
	s_mul_hi_u32 s49, s39, s50
	s_add_u32 s42, s43, s42
	s_addc_u32 s43, 0, s53
	s_add_u32 s42, s42, s52
	s_mul_i32 s50, s39, s50
	s_addc_u32 s42, s43, s51
	s_addc_u32 s43, s49, 0
	s_add_u32 s42, s42, s50
	s_addc_u32 s43, 0, s43
	v_add_co_u32 v1, s42, v1, s42
	s_cmp_lg_u32 s42, 0
	s_addc_u32 s39, s39, s43
	v_readfirstlane_b32 s42, v1
	s_mul_i32 s49, s22, s39
	s_mul_hi_u32 s43, s22, s39
	s_mul_hi_u32 s50, s23, s39
	s_mul_i32 s39, s23, s39
	s_mul_hi_u32 s51, s22, s42
	s_mul_hi_u32 s52, s23, s42
	s_mul_i32 s42, s23, s42
	s_add_u32 s49, s51, s49
	s_addc_u32 s43, 0, s43
	s_add_u32 s42, s49, s42
	s_addc_u32 s42, s43, s52
	s_addc_u32 s43, s50, 0
	s_add_u32 s42, s42, s39
	s_addc_u32 s43, 0, s43
	s_mul_hi_u32 s39, s40, s42
	s_mul_i32 s50, s40, s43
	s_mul_i32 s51, s40, s42
	s_add_i32 s39, s39, s50
	v_sub_co_u32 v1, s50, s22, s51
	s_mul_i32 s49, s41, s42
	s_add_i32 s39, s39, s49
	v_sub_co_u32 v2, s51, v1, s40
	s_sub_i32 s49, s23, s39
	s_cmp_lg_u32 s50, 0
	s_subb_u32 s49, s49, s41
	s_cmp_lg_u32 s51, 0
	v_readfirstlane_b32 s51, v2
	s_subb_u32 s49, s49, 0
	s_cmp_ge_u32 s49, s41
	s_cselect_b32 s52, -1, 0
	s_cmp_ge_u32 s51, s40
	s_cselect_b32 s51, -1, 0
	s_cmp_eq_u32 s49, s41
	s_cselect_b32 s49, s51, s52
	s_add_u32 s51, s42, 1
	s_addc_u32 s52, s43, 0
	s_add_u32 s53, s42, 2
	s_addc_u32 s54, s43, 0
	s_cmp_lg_u32 s49, 0
	s_cselect_b32 s49, s53, s51
	s_cselect_b32 s51, s54, s52
	s_cmp_lg_u32 s50, 0
	v_readfirstlane_b32 s50, v1
	s_subb_u32 s39, s23, s39
	s_cmp_ge_u32 s39, s41
	s_cselect_b32 s52, -1, 0
	s_cmp_ge_u32 s50, s40
	s_cselect_b32 s50, -1, 0
	s_cmp_eq_u32 s39, s41
	s_cselect_b32 s39, s50, s52
	s_cmp_lg_u32 s39, 0
	s_mov_b32 s39, 0
	s_cselect_b32 s43, s51, s43
	s_cselect_b32 s42, s49, s42
.LBB0_6:                                ;   in Loop: Header=BB0_4 Depth=1
	s_andn2_b32 vcc_lo, exec_lo, s39
	s_cbranch_vccnz .LBB0_8
; %bb.7:                                ;   in Loop: Header=BB0_4 Depth=1
	v_cvt_f32_u32_e32 v1, s40
	s_sub_i32 s42, 0, s40
	v_rcp_iflag_f32_e32 v1, v1
	v_mul_f32_e32 v1, 0x4f7ffffe, v1
	v_cvt_u32_f32_e32 v1, v1
	v_readfirstlane_b32 s39, v1
	s_mul_i32 s42, s42, s39
	s_mul_hi_u32 s42, s39, s42
	s_add_i32 s39, s39, s42
	s_mul_hi_u32 s39, s22, s39
	s_mul_i32 s42, s39, s40
	s_add_i32 s43, s39, 1
	s_sub_i32 s42, s22, s42
	s_sub_i32 s49, s42, s40
	s_cmp_ge_u32 s42, s40
	s_cselect_b32 s39, s43, s39
	s_cselect_b32 s42, s49, s42
	s_add_i32 s43, s39, 1
	s_cmp_ge_u32 s42, s40
	s_cselect_b32 s42, s43, s39
	s_mov_b32 s43, s38
.LBB0_8:                                ;   in Loop: Header=BB0_4 Depth=1
	s_load_dwordx2 s[50:51], s[34:35], 0x0
	s_load_dwordx2 s[52:53], s[4:5], 0x0
	s_mul_i32 s29, s40, s29
	s_mul_hi_u32 s39, s40, s28
	s_mul_i32 s49, s41, s28
	s_mul_i32 s41, s42, s41
	s_mul_hi_u32 s54, s42, s40
	s_mul_i32 s55, s43, s40
	s_add_i32 s29, s39, s29
	s_add_i32 s39, s54, s41
	s_mul_i32 s56, s42, s40
	s_add_i32 s29, s29, s49
	s_add_i32 s39, s39, s55
	s_sub_u32 s22, s22, s56
	s_subb_u32 s23, s23, s39
	s_mul_i32 s28, s40, s28
	s_waitcnt lgkmcnt(0)
	s_mul_i32 s39, s50, s23
	s_mul_hi_u32 s41, s50, s22
	s_mul_i32 s49, s51, s22
	s_add_i32 s39, s41, s39
	s_mul_i32 s50, s50, s22
	s_mul_i32 s23, s52, s23
	s_mul_hi_u32 s41, s52, s22
	s_add_i32 s39, s39, s49
	s_add_u32 s48, s50, s48
	s_addc_u32 s47, s39, s47
	s_add_i32 s23, s41, s23
	s_mul_i32 s39, s53, s22
	s_mul_i32 s22, s52, s22
	s_add_i32 s23, s23, s39
	s_add_u32 s46, s22, s46
	s_addc_u32 s45, s23, s45
	s_add_u32 s36, s36, 1
	s_addc_u32 s37, s37, 0
	s_add_u32 s4, s4, 8
	v_cmp_ge_u64_e64 s22, s[36:37], s[30:31]
	s_addc_u32 s5, s5, 0
	s_add_u32 s34, s34, 8
	s_addc_u32 s35, s35, 0
	s_add_u32 s0, s0, 8
	s_addc_u32 s1, s1, 0
	s_and_b32 vcc_lo, exec_lo, s22
	s_cbranch_vccnz .LBB0_10
; %bb.9:                                ;   in Loop: Header=BB0_4 Depth=1
	s_mov_b64 s[22:23], s[42:43]
	s_branch .LBB0_4
.LBB0_10:
	v_cmp_lt_u64_e64 s0, s[6:7], s[28:29]
	s_mov_b64 s[22:23], 0
	s_and_b32 vcc_lo, exec_lo, s0
	s_cbranch_vccnz .LBB0_12
; %bb.11:
	v_cvt_f32_u32_e32 v1, s28
	s_sub_i32 s1, 0, s28
	v_rcp_iflag_f32_e32 v1, v1
	v_mul_f32_e32 v1, 0x4f7ffffe, v1
	v_cvt_u32_f32_e32 v1, v1
	v_readfirstlane_b32 s0, v1
	s_mul_i32 s1, s1, s0
	s_mul_hi_u32 s1, s0, s1
	s_add_i32 s0, s0, s1
	s_mul_hi_u32 s0, s6, s0
	s_mul_i32 s1, s0, s28
	s_add_i32 s4, s0, 1
	s_sub_i32 s1, s6, s1
	s_sub_i32 s5, s1, s28
	s_cmp_ge_u32 s1, s28
	s_cselect_b32 s0, s4, s0
	s_cselect_b32 s1, s5, s1
	s_add_i32 s4, s0, 1
	s_cmp_ge_u32 s1, s28
	s_cselect_b32 s22, s4, s0
.LBB0_12:
	s_lshl_b64 s[0:1], s[30:31], 3
	v_mul_u32_u24_e32 v1, 0x1556, v0
	s_add_u32 s2, s2, s0
	s_addc_u32 s3, s3, s1
	s_load_dwordx2 s[2:3], s[2:3], 0x0
	v_lshrrev_b32_e32 v63, 16, v1
	v_mul_lo_u16 v1, v63, 12
	v_add_nc_u32_e32 v49, 16, v63
	v_sub_nc_u16 v1, v0, v1
	v_and_b32_e32 v64, 0xffff, v1
	s_waitcnt lgkmcnt(0)
	s_mul_i32 s3, s3, s22
	s_mul_hi_u32 s4, s2, s22
	s_mul_i32 s2, s2, s22
	s_add_i32 s3, s4, s3
	s_add_u32 s4, s2, s48
	s_addc_u32 s5, s3, s47
	s_add_u32 s0, s26, s0
	s_addc_u32 s1, s27, s1
	s_load_dwordx2 s[2:3], s[0:1], 0x0
	s_add_u32 s0, s44, 12
	s_addc_u32 s1, s33, 0
	v_cmp_le_u64_e64 s1, s[0:1], s[20:21]
	v_cmp_gt_u32_e64 s0, 0x60, v0
	s_and_b32 vcc_lo, exec_lo, s1
	s_cbranch_vccz .LBB0_16
; %bb.13:
	v_mad_u64_u32 v[1:2], null, s18, v64, 0
	v_mad_u64_u32 v[3:4], null, s16, v63, 0
	v_add_nc_u32_e32 v11, 40, v63
	v_add_nc_u32_e32 v13, 0x50, v63
	v_add_nc_u32_e32 v15, 0x78, v63
	s_lshl_b64 s[6:7], s[4:5], 4
	v_add_nc_u32_e32 v65, 16, v63
	v_mad_u64_u32 v[5:6], null, s16, v11, 0
	v_mad_u64_u32 v[7:8], null, s19, v64, v[2:3]
	s_add_u32 s6, s12, s6
	s_addc_u32 s7, s13, s7
	v_add_nc_u32_e32 v20, 56, v63
	v_or_b32_e32 v23, 0x60, v63
	v_mad_u64_u32 v[8:9], null, s17, v63, v[4:5]
	v_mov_b32_e32 v4, v6
	v_mov_b32_e32 v2, v7
	v_mad_u64_u32 v[9:10], null, s16, v13, 0
	v_add_nc_u32_e32 v24, 0x88, v63
	v_mad_u64_u32 v[6:7], null, s17, v11, v[4:5]
	v_mov_b32_e32 v4, v8
	v_lshlrev_b64 v[1:2], 4, v[1:2]
	v_mad_u64_u32 v[11:12], null, s16, v15, 0
	v_mov_b32_e32 v7, v10
	v_lshlrev_b64 v[3:4], 4, v[3:4]
	v_mad_u64_u32 v[18:19], null, s16, v23, 0
	v_add_co_u32 v35, vcc_lo, s6, v1
	v_add_co_ci_u32_e32 v36, vcc_lo, s7, v2, vcc_lo
	v_lshlrev_b64 v[1:2], 4, v[5:6]
	v_add_co_u32 v3, vcc_lo, v35, v3
	v_add_co_ci_u32_e32 v4, vcc_lo, v36, v4, vcc_lo
	v_mad_u64_u32 v[5:6], null, s17, v13, v[7:8]
	v_add_co_u32 v6, vcc_lo, v35, v1
	v_mov_b32_e32 v1, v12
	v_mad_u64_u32 v[13:14], null, s16, v65, 0
	v_add_co_ci_u32_e32 v7, vcc_lo, v36, v2, vcc_lo
	v_mad_u64_u32 v[15:16], null, s17, v15, v[1:2]
	v_mad_u64_u32 v[16:17], null, s16, v20, 0
	v_mov_b32_e32 v10, v5
	s_clause 0x1
	global_load_dwordx4 v[1:4], v[3:4], off
	global_load_dwordx4 v[5:8], v[6:7], off
                                        ; implicit-def: $vgpr41_vgpr42
                                        ; implicit-def: $vgpr45_vgpr46
                                        ; implicit-def: $vgpr37_vgpr38
	v_mov_b32_e32 v12, v15
	v_mad_u64_u32 v[14:15], null, s17, v65, v[14:15]
	v_mov_b32_e32 v15, v17
	v_lshlrev_b64 v[9:10], 4, v[9:10]
	v_lshlrev_b64 v[11:12], 4, v[11:12]
	v_mad_u64_u32 v[20:21], null, s17, v20, v[15:16]
	v_mad_u64_u32 v[21:22], null, s16, v24, 0
	v_mov_b32_e32 v15, v19
	v_add_co_u32 v9, vcc_lo, v35, v9
	v_lshlrev_b64 v[13:14], 4, v[13:14]
	v_mov_b32_e32 v17, v20
	v_mad_u64_u32 v[19:20], null, s17, v23, v[15:16]
	v_mov_b32_e32 v15, v22
	v_add_co_ci_u32_e32 v10, vcc_lo, v36, v10, vcc_lo
	v_add_co_u32 v11, vcc_lo, v35, v11
	v_mad_u64_u32 v[22:23], null, s17, v24, v[15:16]
	v_lshlrev_b64 v[15:16], 4, v[16:17]
	v_add_co_ci_u32_e32 v12, vcc_lo, v36, v12, vcc_lo
	v_add_co_u32 v13, vcc_lo, v35, v13
	v_lshlrev_b64 v[17:18], 4, v[18:19]
	v_add_co_ci_u32_e32 v14, vcc_lo, v36, v14, vcc_lo
	v_add_co_u32 v15, vcc_lo, v35, v15
	;; [unrolled: 3-line block ×3, first 2 shown]
	v_add_co_ci_u32_e32 v22, vcc_lo, v36, v18, vcc_lo
	v_add_co_u32 v33, vcc_lo, v35, v19
	v_add_co_ci_u32_e32 v34, vcc_lo, v36, v20, vcc_lo
	s_clause 0x5
	global_load_dwordx4 v[29:32], v[9:10], off
	global_load_dwordx4 v[25:28], v[11:12], off
	;; [unrolled: 1-line block ×6, first 2 shown]
                                        ; implicit-def: $vgpr33_vgpr34
	s_and_saveexec_b32 s6, s0
	s_cbranch_execz .LBB0_15
; %bb.14:
	v_or_b32_e32 v43, 32, v63
	v_add_nc_u32_e32 v45, 0x48, v63
	v_or_b32_e32 v46, 0x70, v63
	v_add_nc_u32_e32 v47, 0x98, v63
	v_mad_u64_u32 v[33:34], null, s16, v43, 0
	v_mad_u64_u32 v[37:38], null, s16, v45, 0
	;; [unrolled: 1-line block ×7, first 2 shown]
	v_mov_b32_e32 v34, v43
	v_mad_u64_u32 v[46:47], null, s17, v47, v[42:43]
	v_mov_b32_e32 v38, v44
	v_lshlrev_b64 v[33:34], 4, v[33:34]
	v_mov_b32_e32 v40, v45
	v_lshlrev_b64 v[37:38], 4, v[37:38]
	;; [unrolled: 2-line block ×3, first 2 shown]
	v_add_co_u32 v33, vcc_lo, v35, v33
	v_add_co_ci_u32_e32 v34, vcc_lo, v36, v34, vcc_lo
	v_add_co_u32 v37, vcc_lo, v35, v37
	v_lshlrev_b64 v[41:42], 4, v[41:42]
	v_add_co_ci_u32_e32 v38, vcc_lo, v36, v38, vcc_lo
	v_add_co_u32 v43, vcc_lo, v35, v39
	v_add_co_ci_u32_e32 v44, vcc_lo, v36, v40, vcc_lo
	v_add_co_u32 v41, vcc_lo, v35, v41
	v_add_co_ci_u32_e32 v42, vcc_lo, v36, v42, vcc_lo
	s_clause 0x3
	global_load_dwordx4 v[33:36], v[33:34], off
	global_load_dwordx4 v[37:40], v[37:38], off
	;; [unrolled: 1-line block ×4, first 2 shown]
.LBB0_15:
	s_or_b32 exec_lo, exec_lo, s6
	s_cbranch_execz .LBB0_17
	s_branch .LBB0_24
.LBB0_16:
                                        ; implicit-def: $vgpr1_vgpr2
                                        ; implicit-def: $vgpr25_vgpr26
                                        ; implicit-def: $vgpr9_vgpr10
                                        ; implicit-def: $vgpr13_vgpr14
                                        ; implicit-def: $vgpr33_vgpr34
                                        ; implicit-def: $vgpr41_vgpr42
                                        ; implicit-def: $vgpr45_vgpr46
                                        ; implicit-def: $vgpr37_vgpr38
                                        ; implicit-def: $vgpr21_vgpr22
                                        ; implicit-def: $vgpr17_vgpr18
                                        ; implicit-def: $vgpr29_vgpr30
                                        ; implicit-def: $vgpr5_vgpr6
                                        ; implicit-def: $vgpr65
.LBB0_17:
	s_waitcnt vmcnt(7)
	v_add_co_u32 v1, s0, s44, v64
	v_add_co_ci_u32_e64 v2, null, s33, 0, s0
	s_mov_b32 s0, exec_lo
                                        ; implicit-def: $vgpr65
	v_cmpx_le_u64_e64 s[20:21], v[1:2]
	s_xor_b32 s0, exec_lo, s0
; %bb.18:
	v_add_nc_u32_e32 v65, 16, v63
                                        ; implicit-def: $vgpr49
; %bb.19:
	s_or_saveexec_b32 s0, s0
                                        ; implicit-def: $vgpr1_vgpr2
                                        ; implicit-def: $vgpr25_vgpr26
                                        ; implicit-def: $vgpr9_vgpr10
                                        ; implicit-def: $vgpr13_vgpr14
                                        ; implicit-def: $vgpr33_vgpr34
                                        ; implicit-def: $vgpr41_vgpr42
                                        ; implicit-def: $vgpr45_vgpr46
                                        ; implicit-def: $vgpr37_vgpr38
                                        ; implicit-def: $vgpr21_vgpr22
                                        ; implicit-def: $vgpr17_vgpr18
                                        ; implicit-def: $vgpr29_vgpr30
                                        ; implicit-def: $vgpr5_vgpr6
	s_xor_b32 exec_lo, exec_lo, s0
	s_cbranch_execz .LBB0_23
; %bb.20:
	v_mad_u64_u32 v[1:2], null, s18, v64, 0
	v_mad_u64_u32 v[3:4], null, s16, v63, 0
	s_waitcnt vmcnt(3)
	v_add_nc_u32_e32 v11, 40, v63
	s_waitcnt vmcnt(0)
	v_add_nc_u32_e32 v13, 0x50, v63
	v_add_nc_u32_e32 v15, 0x78, v63
	s_lshl_b64 s[4:5], s[4:5], 4
	v_add_nc_u32_e32 v20, 56, v63
	v_mad_u64_u32 v[5:6], null, s16, v11, 0
	v_mad_u64_u32 v[7:8], null, s19, v64, v[2:3]
	s_add_u32 s4, s12, s4
	s_addc_u32 s5, s13, s5
	v_or_b32_e32 v23, 0x60, v63
	v_add_nc_u32_e32 v24, 0x88, v63
	v_mad_u64_u32 v[8:9], null, s17, v63, v[4:5]
	v_mov_b32_e32 v4, v6
	v_mov_b32_e32 v2, v7
	v_mad_u64_u32 v[9:10], null, s16, v13, 0
	v_mad_u64_u32 v[18:19], null, s16, v23, 0
	;; [unrolled: 1-line block ×3, first 2 shown]
	v_mov_b32_e32 v4, v8
	v_lshlrev_b64 v[1:2], 4, v[1:2]
	v_mad_u64_u32 v[11:12], null, s16, v15, 0
	v_mov_b32_e32 v7, v10
	v_lshlrev_b64 v[3:4], 4, v[3:4]
                                        ; implicit-def: $vgpr41_vgpr42
                                        ; implicit-def: $vgpr45_vgpr46
                                        ; implicit-def: $vgpr37_vgpr38
	v_add_co_u32 v35, vcc_lo, s4, v1
	v_add_co_ci_u32_e32 v36, vcc_lo, s5, v2, vcc_lo
	v_lshlrev_b64 v[1:2], 4, v[5:6]
	v_add_co_u32 v3, vcc_lo, v35, v3
	v_add_co_ci_u32_e32 v4, vcc_lo, v36, v4, vcc_lo
	v_mad_u64_u32 v[5:6], null, s17, v13, v[7:8]
	v_add_co_u32 v6, vcc_lo, v35, v1
	v_mov_b32_e32 v1, v12
	v_mad_u64_u32 v[13:14], null, s16, v49, 0
	v_add_co_ci_u32_e32 v7, vcc_lo, v36, v2, vcc_lo
	v_mad_u64_u32 v[15:16], null, s17, v15, v[1:2]
	v_mad_u64_u32 v[16:17], null, s16, v20, 0
	v_mov_b32_e32 v10, v5
	s_clause 0x1
	global_load_dwordx4 v[1:4], v[3:4], off
	global_load_dwordx4 v[5:8], v[6:7], off
	s_mov_b32 s4, exec_lo
	v_mov_b32_e32 v12, v15
	v_mad_u64_u32 v[14:15], null, s17, v49, v[14:15]
	v_mov_b32_e32 v15, v17
	v_lshlrev_b64 v[9:10], 4, v[9:10]
	v_lshlrev_b64 v[11:12], 4, v[11:12]
	v_mad_u64_u32 v[20:21], null, s17, v20, v[15:16]
	v_mad_u64_u32 v[21:22], null, s16, v24, 0
	v_mov_b32_e32 v15, v19
	v_add_co_u32 v9, vcc_lo, v35, v9
	v_lshlrev_b64 v[13:14], 4, v[13:14]
	v_mov_b32_e32 v17, v20
	v_mad_u64_u32 v[19:20], null, s17, v23, v[15:16]
	v_mov_b32_e32 v15, v22
	v_add_co_ci_u32_e32 v10, vcc_lo, v36, v10, vcc_lo
	v_add_co_u32 v11, vcc_lo, v35, v11
	v_mad_u64_u32 v[22:23], null, s17, v24, v[15:16]
	v_lshlrev_b64 v[15:16], 4, v[16:17]
	v_add_co_ci_u32_e32 v12, vcc_lo, v36, v12, vcc_lo
	v_add_co_u32 v13, vcc_lo, v35, v13
	v_lshlrev_b64 v[17:18], 4, v[18:19]
	v_add_co_ci_u32_e32 v14, vcc_lo, v36, v14, vcc_lo
	v_add_co_u32 v15, vcc_lo, v35, v15
	;; [unrolled: 3-line block ×3, first 2 shown]
	v_add_co_ci_u32_e32 v22, vcc_lo, v36, v18, vcc_lo
	v_add_co_u32 v33, vcc_lo, v35, v19
	v_add_co_ci_u32_e32 v34, vcc_lo, v36, v20, vcc_lo
	s_clause 0x5
	global_load_dwordx4 v[29:32], v[9:10], off
	global_load_dwordx4 v[25:28], v[11:12], off
	;; [unrolled: 1-line block ×6, first 2 shown]
                                        ; implicit-def: $vgpr33_vgpr34
	v_cmpx_gt_u32_e32 0x60, v0
	s_cbranch_execz .LBB0_22
; %bb.21:
	v_or_b32_e32 v43, 32, v63
	v_add_nc_u32_e32 v45, 0x48, v63
	v_or_b32_e32 v46, 0x70, v63
	v_add_nc_u32_e32 v47, 0x98, v63
	v_mad_u64_u32 v[33:34], null, s16, v43, 0
	v_mad_u64_u32 v[37:38], null, s16, v45, 0
	;; [unrolled: 1-line block ×7, first 2 shown]
	v_mov_b32_e32 v34, v43
	v_mad_u64_u32 v[46:47], null, s17, v47, v[42:43]
	v_mov_b32_e32 v38, v44
	v_lshlrev_b64 v[33:34], 4, v[33:34]
	v_mov_b32_e32 v40, v45
	v_lshlrev_b64 v[37:38], 4, v[37:38]
	;; [unrolled: 2-line block ×3, first 2 shown]
	v_add_co_u32 v33, vcc_lo, v35, v33
	v_add_co_ci_u32_e32 v34, vcc_lo, v36, v34, vcc_lo
	v_add_co_u32 v37, vcc_lo, v35, v37
	v_lshlrev_b64 v[41:42], 4, v[41:42]
	v_add_co_ci_u32_e32 v38, vcc_lo, v36, v38, vcc_lo
	v_add_co_u32 v43, vcc_lo, v35, v39
	v_add_co_ci_u32_e32 v44, vcc_lo, v36, v40, vcc_lo
	v_add_co_u32 v41, vcc_lo, v35, v41
	v_add_co_ci_u32_e32 v42, vcc_lo, v36, v42, vcc_lo
	s_clause 0x3
	global_load_dwordx4 v[33:36], v[33:34], off
	global_load_dwordx4 v[37:40], v[37:38], off
	;; [unrolled: 1-line block ×4, first 2 shown]
.LBB0_22:
	s_or_b32 exec_lo, exec_lo, s4
	v_mov_b32_e32 v65, v49
.LBB0_23:
	s_or_b32 exec_lo, exec_lo, s0
.LBB0_24:
	s_waitcnt vmcnt(5)
	v_add_f64 v[49:50], v[1:2], -v[29:30]
	v_add_f64 v[51:52], v[3:4], -v[31:32]
	s_waitcnt vmcnt(4)
	v_add_f64 v[25:26], v[5:6], -v[25:26]
	v_add_f64 v[27:28], v[7:8], -v[27:28]
	;; [unrolled: 3-line block ×4, first 2 shown]
	v_add_f64 v[15:16], v[35:36], -v[47:48]
	v_add_f64 v[59:60], v[37:38], -v[41:42]
	v_mul_u32_u24_e32 v61, 48, v63
	s_mov_b32 s0, 0
	v_fma_f64 v[57:58], v[1:2], 2.0, -v[49:50]
	v_fma_f64 v[3:4], v[3:4], 2.0, -v[51:52]
	;; [unrolled: 1-line block ×8, first 2 shown]
	v_add_f64 v[11:12], v[33:34], -v[45:46]
	v_add_f64 v[45:46], v[39:40], -v[43:44]
	;; [unrolled: 1-line block ×3, first 2 shown]
	v_add_f64 v[27:28], v[13:14], v[55:56]
	v_add_f64 v[23:24], v[25:26], v[51:52]
	v_add_f64 v[25:26], v[53:54], -v[29:30]
	v_add_f64 v[29:30], v[57:58], -v[1:2]
	v_add_f64 v[31:32], v[3:4], -v[5:6]
	v_fma_f64 v[5:6], v[37:38], 2.0, -v[59:60]
	v_add_f64 v[41:42], v[7:8], -v[17:18]
	v_add_f64 v[43:44], v[9:10], -v[19:20]
	v_fma_f64 v[13:14], v[33:34], 2.0, -v[11:12]
	v_fma_f64 v[17:18], v[35:36], 2.0, -v[15:16]
	;; [unrolled: 1-line block ×3, first 2 shown]
	v_add_f64 v[1:2], v[11:12], -v[45:46]
	v_fma_f64 v[33:34], v[49:50], 2.0, -v[21:22]
	v_fma_f64 v[35:36], v[51:52], 2.0, -v[23:24]
	;; [unrolled: 1-line block ×6, first 2 shown]
	v_add_f64 v[3:4], v[59:60], v[15:16]
	v_fma_f64 v[49:50], v[7:8], 2.0, -v[41:42]
	v_fma_f64 v[51:52], v[9:10], 2.0, -v[43:44]
	v_add_f64 v[5:6], v[13:14], -v[5:6]
	v_mad_u64_u32 v[9:10], null, 0x300, v65, s[0:1]
	v_add_f64 v[7:8], v[17:18], -v[19:20]
	v_lshlrev_b32_e32 v19, 4, v64
	v_lshl_add_u32 v20, v61, 4, 0
	v_cmp_gt_u32_e64 s0, 0x60, v0
	v_add_nc_u32_e32 v0, v9, v19
	v_add_nc_u32_e32 v10, v20, v19
	ds_write_b128 v10, v[21:24] offset:576
	ds_write_b128 v10, v[33:36] offset:192
	;; [unrolled: 1-line block ×3, first 2 shown]
	ds_write_b128 v10, v[45:48]
	ds_write_b128 v0, v[49:52]
	ds_write_b128 v0, v[37:40] offset:192
	ds_write_b128 v0, v[41:44] offset:384
	;; [unrolled: 1-line block ×3, first 2 shown]
	s_and_saveexec_b32 s4, s0
	s_cbranch_execz .LBB0_26
; %bb.25:
	v_fma_f64 v[23:24], v[17:18], 2.0, -v[7:8]
	v_fma_f64 v[21:22], v[13:14], 2.0, -v[5:6]
	;; [unrolled: 1-line block ×4, first 2 shown]
	v_lshl_add_u32 v0, v64, 4, v20
	ds_write_b128 v0, v[5:8] offset:24960
	ds_write_b128 v0, v[21:24] offset:24576
	;; [unrolled: 1-line block ×4, first 2 shown]
.LBB0_26:
	s_or_b32 exec_lo, exec_lo, s4
	v_and_b32_e32 v10, 3, v63
	s_waitcnt lgkmcnt(0)
	s_barrier
	buffer_gl0_inv
	v_mul_lo_u32 v15, 0xfffffdc0, v65
	v_mul_u32_u24_e32 v0, 9, v10
	s_mov_b32 s4, 0x134454ff
	s_mov_b32 s5, 0x3fee6f0e
	;; [unrolled: 1-line block ×4, first 2 shown]
	v_lshlrev_b32_e32 v0, 4, v0
	s_mov_b32 s16, 0x4755a5e
	v_add3_u32 v17, v9, v15, v19
	s_mov_b32 s17, 0x3fe2cf23
	s_mov_b32 s13, 0xbfe2cf23
	s_clause 0x8
	global_load_dwordx4 v[11:14], v0, s[24:25] offset:32
	global_load_dwordx4 v[21:24], v0, s[24:25] offset:64
	;; [unrolled: 1-line block ×4, first 2 shown]
	global_load_dwordx4 v[33:36], v0, s[24:25]
	global_load_dwordx4 v[37:40], v0, s[24:25] offset:16
	global_load_dwordx4 v[41:44], v0, s[24:25] offset:48
	;; [unrolled: 1-line block ×4, first 2 shown]
	v_mul_i32_i24_e32 v0, 0xfffffdc0, v63
	s_mov_b32 s12, s16
	s_mov_b32 s18, 0x372fe950
	;; [unrolled: 1-line block ×4, first 2 shown]
	v_add3_u32 v0, v20, v0, v19
	s_mov_b32 s27, 0x3fe9e377
	v_lshrrev_b32_e32 v9, 2, v63
	ds_read_b128 v[53:56], v0 offset:9216
	ds_read_b128 v[57:60], v0 offset:15360
	;; [unrolled: 1-line block ×4, first 2 shown]
	ds_read_b128 v[74:77], v17
	ds_read_b128 v[78:81], v0 offset:12288
	ds_read_b128 v[82:85], v0 offset:18432
	;; [unrolled: 1-line block ×3, first 2 shown]
	v_mul_u32_u24_e32 v9, 40, v9
	ds_read_b128 v[90:93], v0
	v_or_b32_e32 v18, v9, v10
	v_mul_u32_u24_e32 v18, 0xc0, v18
	v_add3_u32 v18, 0, v18, v19
	s_waitcnt vmcnt(8) lgkmcnt(8)
	v_mul_f64 v[61:62], v[55:56], v[13:14]
	v_mul_f64 v[94:95], v[53:54], v[13:14]
	s_waitcnt vmcnt(7) lgkmcnt(7)
	v_mul_f64 v[96:97], v[59:60], v[23:24]
	v_mul_f64 v[23:24], v[57:58], v[23:24]
	s_waitcnt vmcnt(6) lgkmcnt(6)
	v_mul_f64 v[98:99], v[66:67], v[27:28]
	s_waitcnt vmcnt(5) lgkmcnt(5)
	v_mul_f64 v[100:101], v[70:71], v[31:32]
	v_mul_f64 v[31:32], v[72:73], v[31:32]
	;; [unrolled: 1-line block ×3, first 2 shown]
	ds_read_b128 v[13:16], v0 offset:24576
	s_waitcnt vmcnt(4) lgkmcnt(5)
	v_mul_f64 v[102:103], v[76:77], v[35:36]
	v_mul_f64 v[35:36], v[74:75], v[35:36]
	s_waitcnt vmcnt(3) lgkmcnt(2)
	v_mul_f64 v[104:105], v[88:89], v[39:40]
	s_waitcnt vmcnt(2)
	v_mul_f64 v[106:107], v[80:81], v[43:44]
	v_mul_f64 v[39:40], v[86:87], v[39:40]
	;; [unrolled: 1-line block ×3, first 2 shown]
	s_waitcnt vmcnt(1)
	v_mul_f64 v[108:109], v[84:85], v[47:48]
	s_waitcnt vmcnt(0) lgkmcnt(0)
	s_barrier
	buffer_gl0_inv
	v_fma_f64 v[53:54], v[53:54], v[11:12], -v[61:62]
	v_fma_f64 v[11:12], v[55:56], v[11:12], v[94:95]
	v_fma_f64 v[57:58], v[57:58], v[21:22], -v[96:97]
	v_fma_f64 v[20:21], v[59:60], v[21:22], v[23:24]
	v_fma_f64 v[22:23], v[68:69], v[25:26], v[98:99]
	;; [unrolled: 1-line block ×3, first 2 shown]
	v_mul_f64 v[55:56], v[15:16], v[51:52]
	v_fma_f64 v[29:30], v[70:71], v[29:30], -v[31:32]
	v_fma_f64 v[24:25], v[66:67], v[25:26], -v[27:28]
	v_mul_f64 v[26:27], v[82:83], v[47:48]
	v_mul_f64 v[31:32], v[13:14], v[51:52]
	v_fma_f64 v[47:48], v[86:87], v[37:38], -v[104:105]
	v_fma_f64 v[51:52], v[78:79], v[41:42], -v[106:107]
	;; [unrolled: 1-line block ×3, first 2 shown]
	v_add_f64 v[86:87], v[53:54], -v[57:58]
	v_add_f64 v[94:95], v[57:58], -v[53:54]
	;; [unrolled: 1-line block ×4, first 2 shown]
	v_fma_f64 v[13:14], v[13:14], v[49:50], -v[55:56]
	v_fma_f64 v[55:56], v[74:75], v[33:34], -v[102:103]
	v_fma_f64 v[33:34], v[76:77], v[33:34], v[35:36]
	v_fma_f64 v[35:36], v[88:89], v[37:38], v[39:40]
	;; [unrolled: 1-line block ×3, first 2 shown]
	v_add_f64 v[39:40], v[20:21], v[22:23]
	v_add_f64 v[41:42], v[11:12], v[59:60]
	;; [unrolled: 1-line block ×4, first 2 shown]
	v_fma_f64 v[26:27], v[84:85], v[45:46], v[26:27]
	v_fma_f64 v[15:16], v[15:16], v[49:50], v[31:32]
	v_add_f64 v[49:50], v[57:58], -v[24:25]
	v_add_f64 v[70:71], v[53:54], -v[29:30]
	v_add_f64 v[31:32], v[51:52], v[61:62]
	v_add_f64 v[88:89], v[29:30], -v[24:25]
	v_add_f64 v[96:97], v[24:25], -v[29:30]
	;; [unrolled: 1-line block ×6, first 2 shown]
	v_add_f64 v[82:83], v[90:91], v[47:48]
	v_add_f64 v[78:79], v[47:48], -v[51:52]
	v_add_f64 v[45:46], v[47:48], v[13:14]
	v_add_f64 v[53:54], v[55:56], v[53:54]
	;; [unrolled: 1-line block ×4, first 2 shown]
	v_add_f64 v[80:81], v[13:14], -v[61:62]
	v_fma_f64 v[39:40], v[39:40], -0.5, v[33:34]
	v_fma_f64 v[41:42], v[41:42], -0.5, v[33:34]
	;; [unrolled: 1-line block ×4, first 2 shown]
	v_add_f64 v[74:75], v[37:38], v[26:27]
	v_add_f64 v[76:77], v[35:36], v[15:16]
	v_add_f64 v[98:99], v[51:52], -v[47:48]
	v_add_f64 v[102:103], v[35:36], -v[37:38]
	v_fma_f64 v[31:32], v[31:32], -0.5, v[90:91]
	v_add_f64 v[86:87], v[86:87], v[88:89]
	v_add_f64 v[94:95], v[94:95], v[96:97]
	v_add_f64 v[96:97], v[37:38], -v[26:27]
	v_add_f64 v[47:48], v[47:48], -v[13:14]
	;; [unrolled: 1-line block ×4, first 2 shown]
	v_add_f64 v[51:52], v[82:83], v[51:52]
	v_add_f64 v[100:101], v[61:62], -v[13:14]
	v_fma_f64 v[45:46], v[45:46], -0.5, v[90:91]
	v_add_f64 v[90:91], v[104:105], v[106:107]
	v_add_f64 v[104:105], v[108:109], v[110:111]
	;; [unrolled: 1-line block ×4, first 2 shown]
	v_fma_f64 v[55:56], v[70:71], s[6:7], v[39:40]
	v_fma_f64 v[112:113], v[49:50], s[4:5], v[41:42]
	;; [unrolled: 1-line block ×8, first 2 shown]
	v_add_f64 v[66:67], v[37:38], -v[35:36]
	v_add_f64 v[35:36], v[35:36], -v[15:16]
	v_fma_f64 v[74:75], v[74:75], -0.5, v[92:93]
	v_fma_f64 v[76:77], v[76:77], -0.5, v[92:93]
	v_add_f64 v[37:38], v[84:85], v[37:38]
	v_add_f64 v[92:93], v[26:27], -v[15:16]
	v_add_f64 v[84:85], v[102:103], v[118:119]
	v_add_f64 v[51:52], v[51:52], v[61:62]
	v_fma_f64 v[57:58], v[96:97], s[6:7], v[45:46]
	v_fma_f64 v[45:46], v[96:97], s[4:5], v[45:46]
	v_add_f64 v[24:25], v[53:54], v[24:25]
	v_add_f64 v[11:12], v[11:12], v[22:23]
	v_fma_f64 v[55:56], v[49:50], s[12:13], v[55:56]
	v_fma_f64 v[106:107], v[70:71], s[12:13], v[112:113]
	;; [unrolled: 1-line block ×8, first 2 shown]
	v_add_f64 v[49:50], v[78:79], v[80:81]
	v_fma_f64 v[20:21], v[35:36], s[4:5], v[31:32]
	v_fma_f64 v[31:32], v[35:36], s[6:7], v[31:32]
	;; [unrolled: 1-line block ×6, first 2 shown]
	v_add_f64 v[26:27], v[37:38], v[26:27]
	v_add_f64 v[68:69], v[98:99], v[100:101]
	;; [unrolled: 1-line block ×6, first 2 shown]
	v_fma_f64 v[55:56], v[90:91], s[18:19], v[55:56]
	v_fma_f64 v[74:75], v[104:105], s[18:19], v[106:107]
	;; [unrolled: 1-line block ×16, first 2 shown]
	v_add_f64 v[15:16], v[26:27], v[15:16]
	v_mul_f64 v[53:54], v[55:56], s[16:17]
	v_mul_f64 v[57:58], v[74:75], s[4:5]
	;; [unrolled: 1-line block ×8, first 2 shown]
	v_fma_f64 v[51:52], v[49:50], s[18:19], v[20:21]
	v_fma_f64 v[59:60], v[49:50], s[18:19], v[22:23]
	;; [unrolled: 1-line block ×6, first 2 shown]
	v_add_f64 v[20:21], v[13:14], v[24:25]
	v_add_f64 v[24:25], v[13:14], -v[24:25]
	v_add_f64 v[22:23], v[15:16], v[11:12]
	v_add_f64 v[26:27], v[15:16], -v[11:12]
	v_fma_f64 v[45:46], v[80:81], s[26:27], v[53:54]
	v_fma_f64 v[53:54], v[43:44], s[18:19], v[57:58]
	v_fma_f64 v[57:58], v[41:42], s[4:5], -v[61:62]
	v_fma_f64 v[42:43], v[55:56], s[26:27], v[70:71]
	v_fma_f64 v[55:56], v[66:67], s[18:19], v[72:73]
	;; [unrolled: 1-line block ×4, first 2 shown]
	v_fma_f64 v[72:73], v[78:79], s[6:7], -v[86:87]
	v_fma_f64 v[66:67], v[39:40], s[16:17], -v[76:77]
	;; [unrolled: 1-line block ×3, first 2 shown]
	v_add_f64 v[28:29], v[51:52], v[45:46]
	v_add_f64 v[32:33], v[49:50], v[53:54]
	;; [unrolled: 1-line block ×4, first 2 shown]
	v_add_f64 v[40:41], v[51:52], -v[45:46]
	v_add_f64 v[34:35], v[55:56], v[70:71]
	v_add_f64 v[42:43], v[90:91], -v[42:43]
	v_add_f64 v[38:39], v[61:62], v[72:73]
	v_add_f64 v[44:45], v[59:60], v[66:67]
	;; [unrolled: 1-line block ×3, first 2 shown]
	v_add_f64 v[48:49], v[49:50], -v[53:54]
	v_add_f64 v[50:51], v[55:56], -v[70:71]
	;; [unrolled: 1-line block ×6, first 2 shown]
	ds_write_b128 v18, v[20:23]
	ds_write_b128 v18, v[24:27] offset:3840
	ds_write_b128 v18, v[28:31] offset:768
	;; [unrolled: 1-line block ×9, first 2 shown]
	s_waitcnt lgkmcnt(0)
	s_barrier
	buffer_gl0_inv
	ds_read_b128 v[29:32], v0
	ds_read_b128 v[53:56], v0 offset:7680
	ds_read_b128 v[49:52], v0 offset:15360
	;; [unrolled: 1-line block ×5, first 2 shown]
	ds_read_b128 v[33:36], v17
	ds_read_b128 v[45:48], v0 offset:26112
	s_and_saveexec_b32 s4, s0
	s_cbranch_execz .LBB0_28
; %bb.27:
	v_add_nc_u32_e32 v1, 0x1800, v0
	ds_read_b128 v[13:16], v0 offset:13824
	ds_read_b128 v[5:8], v0 offset:21504
	ds_read_b128 v[9:12], v1
	ds_read_b128 v[1:4], v0 offset:29184
.LBB0_28:
	s_or_b32 exec_lo, exec_lo, s4
	v_and_b32_e32 v0, 0xff, v65
	v_mul_u32_u24_e32 v17, 3, v63
	v_mov_b32_e32 v18, 4
	s_mul_i32 s3, s3, s22
	s_mul_hi_u32 s4, s2, s22
	v_mul_lo_u16 v0, 0xcd, v0
	v_lshlrev_b32_e32 v17, 4, v17
	s_mul_i32 s2, s2, s22
	s_add_i32 s4, s4, s3
	s_add_u32 s2, s2, s46
	v_lshrrev_b16 v66, 13, v0
	global_load_dwordx4 v[67:70], v17, s[24:25] offset:576
	s_addc_u32 s3, s4, s45
	s_andn2_b32 vcc_lo, exec_lo, s1
	v_mul_lo_u16 v0, v66, 40
	v_sub_nc_u16 v0, v65, v0
	v_mul_lo_u16 v0, v0, 3
	v_lshlrev_b32_sdwa v0, v18, v0 dst_sel:DWORD dst_unused:UNUSED_PAD src0_sel:DWORD src1_sel:BYTE_0
	s_clause 0x4
	global_load_dwordx4 v[71:74], v17, s[24:25] offset:592
	global_load_dwordx4 v[75:78], v17, s[24:25] offset:608
	;; [unrolled: 1-line block ×5, first 2 shown]
	v_or_b32_e32 v0, 32, v63
	v_mul_lo_u16 v17, v0, 13
	v_lshrrev_b16 v17, 9, v17
	v_mul_lo_u16 v17, v17, 40
	v_sub_nc_u16 v17, v0, v17
	v_mul_lo_u16 v17, v17, 3
	v_lshlrev_b32_sdwa v25, v18, v17 dst_sel:DWORD dst_unused:UNUSED_PAD src0_sel:DWORD src1_sel:BYTE_0
	s_clause 0x2
	global_load_dwordx4 v[17:20], v25, s[24:25] offset:608
	global_load_dwordx4 v[21:24], v25, s[24:25] offset:592
	;; [unrolled: 1-line block ×3, first 2 shown]
	s_waitcnt vmcnt(8) lgkmcnt(6)
	v_mul_f64 v[61:62], v[55:56], v[69:70]
	v_mul_f64 v[69:70], v[53:54], v[69:70]
	s_waitcnt vmcnt(7) lgkmcnt(5)
	v_mul_f64 v[91:92], v[51:52], v[73:74]
	v_mul_f64 v[73:74], v[49:50], v[73:74]
	;; [unrolled: 3-line block ×3, first 2 shown]
	s_waitcnt vmcnt(5)
	v_mul_f64 v[95:96], v[39:40], v[81:82]
	v_mul_f64 v[81:82], v[37:38], v[81:82]
	s_waitcnt vmcnt(4) lgkmcnt(2)
	v_mul_f64 v[97:98], v[43:44], v[85:86]
	v_mul_f64 v[85:86], v[41:42], v[85:86]
	s_waitcnt vmcnt(3) lgkmcnt(0)
	v_mul_f64 v[99:100], v[47:48], v[89:90]
	v_mul_f64 v[89:90], v[45:46], v[89:90]
	v_fma_f64 v[53:54], v[53:54], v[67:68], -v[61:62]
	v_fma_f64 v[55:56], v[55:56], v[67:68], v[69:70]
	v_fma_f64 v[49:50], v[49:50], v[71:72], -v[91:92]
	v_fma_f64 v[51:52], v[51:52], v[71:72], v[73:74]
	;; [unrolled: 2-line block ×6, first 2 shown]
	v_add_f64 v[61:62], v[29:30], -v[49:50]
	v_add_f64 v[67:68], v[31:32], -v[51:52]
	v_add_f64 v[49:50], v[53:54], -v[57:58]
	v_add_f64 v[51:52], v[55:56], -v[59:60]
	v_add_f64 v[41:42], v[33:34], -v[41:42]
	v_add_f64 v[43:44], v[35:36], -v[43:44]
	v_add_f64 v[45:46], v[37:38], -v[45:46]
	v_add_f64 v[47:48], v[39:40], -v[47:48]
	v_fma_f64 v[57:58], v[29:30], 2.0, -v[61:62]
	v_fma_f64 v[59:60], v[31:32], 2.0, -v[67:68]
	;; [unrolled: 1-line block ×8, first 2 shown]
	v_add_f64 v[37:38], v[61:62], -v[51:52]
	v_add_f64 v[39:40], v[67:68], v[49:50]
	v_add_f64 v[49:50], v[57:58], -v[29:30]
	v_add_f64 v[51:52], v[59:60], -v[31:32]
	;; [unrolled: 1-line block ×3, first 2 shown]
	v_add_f64 v[31:32], v[43:44], v[45:46]
	v_add_f64 v[33:34], v[69:70], -v[33:34]
	v_add_f64 v[35:36], v[71:72], -v[35:36]
	v_fma_f64 v[53:54], v[61:62], 2.0, -v[37:38]
	v_fma_f64 v[55:56], v[67:68], 2.0, -v[39:40]
	v_fma_f64 v[57:58], v[57:58], 2.0, -v[49:50]
	v_fma_f64 v[59:60], v[59:60], 2.0, -v[51:52]
	v_fma_f64 v[41:42], v[41:42], 2.0, -v[29:30]
	v_fma_f64 v[43:44], v[43:44], 2.0, -v[31:32]
	v_fma_f64 v[45:46], v[69:70], 2.0, -v[33:34]
	v_fma_f64 v[47:48], v[71:72], 2.0, -v[35:36]
	s_cbranch_vccnz .LBB0_30
; %bb.29:
	v_mad_u64_u32 v[61:62], null, s10, v64, 0
	v_add_nc_u32_e32 v75, 40, v63
	v_mad_u64_u32 v[67:68], null, s8, v63, 0
	v_add_nc_u32_e32 v76, 0x50, v63
	s_lshl_b64 s[4:5], s[2:3], 4
	v_mad_u64_u32 v[69:70], null, s8, v75, 0
	v_mad_u64_u32 v[71:72], null, s11, v64, v[62:63]
	v_and_b32_e32 v78, 0xffff, v66
	v_add_nc_u32_e32 v77, 0x78, v63
	s_add_u32 s1, s14, s4
	s_addc_u32 s4, s15, s5
	v_mad_u64_u32 v[72:73], null, s9, v63, v[68:69]
	v_mov_b32_e32 v68, v70
	v_mov_b32_e32 v62, v71
	v_mad_u64_u32 v[73:74], null, s8, v76, 0
	v_mad_u32_u24 v79, 0x78, v78, v65
	v_mad_u64_u32 v[70:71], null, s9, v75, v[68:69]
	v_mov_b32_e32 v68, v72
	v_lshlrev_b64 v[61:62], 4, v[61:62]
	v_mad_u64_u32 v[71:72], null, s8, v77, 0
	v_mad_u64_u32 v[74:75], null, s9, v76, v[74:75]
	v_lshlrev_b64 v[67:68], 4, v[67:68]
	v_add_co_u32 v61, vcc_lo, s1, v61
	v_add_co_ci_u32_e32 v62, vcc_lo, s4, v62, vcc_lo
	v_lshlrev_b64 v[69:70], 4, v[69:70]
	v_add_co_u32 v67, vcc_lo, v61, v67
	v_add_co_ci_u32_e32 v68, vcc_lo, v62, v68, vcc_lo
	v_mad_u64_u32 v[75:76], null, s8, v79, 0
	v_add_co_u32 v69, vcc_lo, v61, v69
	v_add_co_ci_u32_e32 v70, vcc_lo, v62, v70, vcc_lo
	v_mad_u64_u32 v[77:78], null, s9, v77, v[72:73]
	global_store_dwordx4 v[67:68], v[57:60], off
	global_store_dwordx4 v[69:70], v[53:56], off
	v_lshlrev_b64 v[68:69], 4, v[73:74]
	v_add_nc_u32_e32 v81, 40, v79
	v_mov_b32_e32 v67, v76
	v_add_nc_u32_e32 v83, 0x78, v79
	v_add_nc_u32_e32 v82, 0x50, v79
	v_mov_b32_e32 v72, v77
	v_mad_u64_u32 v[77:78], null, s8, v81, 0
	v_mad_u64_u32 v[73:74], null, s9, v79, v[67:68]
	v_lshlrev_b64 v[71:72], 4, v[71:72]
	v_add_co_u32 v67, vcc_lo, v61, v68
	v_mad_u64_u32 v[79:80], null, s8, v83, 0
	v_add_co_ci_u32_e32 v68, vcc_lo, v62, v69, vcc_lo
	v_mad_u64_u32 v[69:70], null, s8, v82, 0
	v_mov_b32_e32 v74, v78
	v_mov_b32_e32 v76, v73
	v_add_co_u32 v71, vcc_lo, v61, v71
	v_add_co_ci_u32_e32 v72, vcc_lo, v62, v72, vcc_lo
	v_mad_u64_u32 v[73:74], null, s9, v81, v[74:75]
	v_lshlrev_b64 v[74:75], 4, v[75:76]
	v_mov_b32_e32 v76, v80
	v_mad_u64_u32 v[80:81], null, s9, v82, v[70:71]
	global_store_dwordx4 v[67:68], v[49:52], off
	v_mad_u64_u32 v[81:82], null, s9, v83, v[76:77]
	v_mov_b32_e32 v78, v73
	v_add_co_u32 v73, vcc_lo, v61, v74
	v_mov_b32_e32 v70, v80
	v_add_co_ci_u32_e32 v74, vcc_lo, v62, v75, vcc_lo
	v_lshlrev_b64 v[67:68], 4, v[77:78]
	v_mov_b32_e32 v80, v81
	v_lshlrev_b64 v[69:70], 4, v[69:70]
	global_store_dwordx4 v[71:72], v[37:40], off
	global_store_dwordx4 v[73:74], v[45:48], off
	s_and_b32 s1, s0, exec_lo
	v_add_co_u32 v67, vcc_lo, v61, v67
	v_lshlrev_b64 v[71:72], 4, v[79:80]
	v_add_co_ci_u32_e32 v68, vcc_lo, v62, v68, vcc_lo
	v_add_co_u32 v69, vcc_lo, v61, v69
	v_add_co_ci_u32_e32 v70, vcc_lo, v62, v70, vcc_lo
	v_add_co_u32 v71, vcc_lo, v61, v71
	v_add_co_ci_u32_e32 v72, vcc_lo, v62, v72, vcc_lo
	global_store_dwordx4 v[67:68], v[41:44], off
	global_store_dwordx4 v[69:70], v[33:36], off
	;; [unrolled: 1-line block ×3, first 2 shown]
	s_cbranch_execz .LBB0_31
	s_branch .LBB0_34
.LBB0_30:
	s_mov_b32 s1, 0
                                        ; implicit-def: $vgpr61_vgpr62
.LBB0_31:
	v_add_co_u32 v61, s4, s44, v64
	v_add_co_ci_u32_e64 v62, null, s33, 0, s4
	v_cmp_gt_u64_e32 vcc_lo, s[20:21], v[61:62]
                                        ; implicit-def: $vgpr61_vgpr62
	s_and_saveexec_b32 s4, vcc_lo
	s_cbranch_execz .LBB0_33
; %bb.32:
	v_add_nc_u32_e32 v75, 40, v63
	v_mad_u64_u32 v[61:62], null, s10, v64, 0
	v_mad_u64_u32 v[67:68], null, s8, v63, 0
	;; [unrolled: 1-line block ×3, first 2 shown]
	v_add_nc_u32_e32 v76, 0x50, v63
	v_add_nc_u32_e32 v77, 0x78, v63
	v_mad_u64_u32 v[71:72], null, s11, v64, v[62:63]
	s_lshl_b64 s[2:3], s[2:3], 4
	s_add_u32 s2, s14, s2
	v_mad_u64_u32 v[72:73], null, s9, v63, v[68:69]
	v_mad_u64_u32 v[73:74], null, s8, v76, 0
	v_mov_b32_e32 v64, v70
	v_mov_b32_e32 v62, v71
	s_addc_u32 s3, s15, s3
	s_andn2_b32 s1, s1, exec_lo
	v_mov_b32_e32 v68, v72
	v_mad_u64_u32 v[70:71], null, s9, v75, v[64:65]
	v_mov_b32_e32 v64, v74
	v_lshlrev_b64 v[61:62], 4, v[61:62]
	v_lshlrev_b64 v[67:68], 4, v[67:68]
	s_and_b32 s0, s0, exec_lo
	v_mad_u64_u32 v[71:72], null, s9, v76, v[64:65]
	v_and_b32_e32 v64, 0xffff, v66
	v_mad_u64_u32 v[75:76], null, s8, v77, 0
	v_add_co_u32 v61, vcc_lo, s2, v61
	v_mad_u32_u24 v78, 0x78, v64, v65
	v_add_co_ci_u32_e32 v62, vcc_lo, s3, v62, vcc_lo
	v_lshlrev_b64 v[64:65], 4, v[69:70]
	v_add_co_u32 v66, vcc_lo, v61, v67
	v_mad_u64_u32 v[69:70], null, s8, v78, 0
	v_mov_b32_e32 v74, v71
	v_add_co_ci_u32_e32 v67, vcc_lo, v62, v68, vcc_lo
	v_mov_b32_e32 v68, v76
	v_add_co_u32 v64, vcc_lo, v61, v64
	v_lshlrev_b64 v[71:72], 4, v[73:74]
	v_add_co_ci_u32_e32 v65, vcc_lo, v62, v65, vcc_lo
	v_mad_u64_u32 v[73:74], null, s9, v77, v[68:69]
	v_mov_b32_e32 v68, v70
	v_add_co_u32 v70, vcc_lo, v61, v71
	v_add_nc_u32_e32 v77, 40, v78
	v_add_co_ci_u32_e32 v71, vcc_lo, v62, v72, vcc_lo
	v_mov_b32_e32 v76, v73
	v_mad_u64_u32 v[72:73], null, s9, v78, v[68:69]
	v_mad_u64_u32 v[73:74], null, s8, v77, 0
	global_store_dwordx4 v[66:67], v[57:60], off
	global_store_dwordx4 v[64:65], v[53:56], off
	;; [unrolled: 1-line block ×3, first 2 shown]
	v_add_nc_u32_e32 v57, 0x50, v78
	v_add_nc_u32_e32 v60, 0x78, v78
	v_lshlrev_b64 v[49:50], 4, v[75:76]
	v_mov_b32_e32 v70, v72
	s_or_b32 s1, s1, s0
	v_mad_u64_u32 v[52:53], null, s8, v57, 0
	v_mov_b32_e32 v51, v74
	v_add_co_u32 v49, vcc_lo, v61, v49
	v_add_co_ci_u32_e32 v50, vcc_lo, v62, v50, vcc_lo
	v_mad_u64_u32 v[54:55], null, s9, v77, v[51:52]
	v_mov_b32_e32 v51, v53
	v_mad_u64_u32 v[55:56], null, s8, v60, 0
	v_mad_u64_u32 v[57:58], null, s9, v57, v[51:52]
	v_mov_b32_e32 v74, v54
	v_lshlrev_b64 v[53:54], 4, v[69:70]
	v_lshlrev_b64 v[58:59], 4, v[73:74]
	v_mad_u64_u32 v[64:65], null, s9, v60, v[56:57]
	v_add_co_u32 v65, vcc_lo, v61, v53
	v_mov_b32_e32 v53, v57
	v_add_co_ci_u32_e32 v66, vcc_lo, v62, v54, vcc_lo
	v_add_co_u32 v57, vcc_lo, v61, v58
	v_mov_b32_e32 v56, v64
	v_add_co_ci_u32_e32 v58, vcc_lo, v62, v59, vcc_lo
	v_lshlrev_b64 v[51:52], 4, v[52:53]
	global_store_dwordx4 v[49:50], v[37:40], off
	global_store_dwordx4 v[65:66], v[45:48], off
	;; [unrolled: 1-line block ×3, first 2 shown]
	v_lshlrev_b64 v[37:38], 4, v[55:56]
	v_add_co_u32 v39, vcc_lo, v61, v51
	v_add_co_ci_u32_e32 v40, vcc_lo, v62, v52, vcc_lo
	v_add_co_u32 v37, vcc_lo, v61, v37
	v_add_co_ci_u32_e32 v38, vcc_lo, v62, v38, vcc_lo
	global_store_dwordx4 v[39:40], v[33:36], off
	global_store_dwordx4 v[37:38], v[29:32], off
.LBB0_33:
	s_or_b32 exec_lo, exec_lo, s4
.LBB0_34:
	s_and_saveexec_b32 s0, s1
	s_cbranch_execnz .LBB0_36
; %bb.35:
	s_endpgm
.LBB0_36:
	s_waitcnt vmcnt(0)
	v_mul_f64 v[29:30], v[15:16], v[27:28]
	v_mul_f64 v[27:28], v[13:14], v[27:28]
	;; [unrolled: 1-line block ×6, first 2 shown]
	v_fma_f64 v[13:14], v[13:14], v[25:26], -v[29:30]
	v_fma_f64 v[15:16], v[15:16], v[25:26], v[27:28]
	v_fma_f64 v[5:6], v[5:6], v[21:22], -v[31:32]
	v_fma_f64 v[7:8], v[7:8], v[21:22], v[23:24]
	;; [unrolled: 2-line block ×3, first 2 shown]
	v_or_b32_e32 v29, 0x70, v63
	v_add_nc_u32_e32 v30, 0x98, v63
	v_mad_u64_u32 v[25:26], null, s8, v29, 0
	v_mad_u64_u32 v[27:28], null, s8, v30, 0
	v_add_f64 v[17:18], v[9:10], -v[5:6]
	v_add_f64 v[19:20], v[11:12], -v[7:8]
	;; [unrolled: 1-line block ×4, first 2 shown]
	v_fma_f64 v[21:22], v[9:10], 2.0, -v[17:18]
	v_fma_f64 v[11:12], v[11:12], 2.0, -v[19:20]
	;; [unrolled: 1-line block ×4, first 2 shown]
	v_add_nc_u32_e32 v16, 0x48, v63
	v_add_f64 v[1:2], v[17:18], -v[1:2]
	v_add_f64 v[3:4], v[19:20], v[5:6]
	v_mad_u64_u32 v[13:14], null, s8, v0, 0
	v_mad_u64_u32 v[23:24], null, s8, v16, 0
	v_mov_b32_e32 v15, v24
	v_add_f64 v[5:6], v[21:22], -v[7:8]
	v_add_f64 v[7:8], v[11:12], -v[9:10]
	v_mad_u64_u32 v[9:10], null, s9, v0, v[14:15]
	v_mov_b32_e32 v0, v26
	v_mad_u64_u32 v[15:16], null, s9, v16, v[15:16]
	v_mov_b32_e32 v10, v28
	;; [unrolled: 2-line block ×4, first 2 shown]
	v_fma_f64 v[9:10], v[17:18], 2.0, -v[1:2]
	v_lshlrev_b64 v[30:31], 4, v[13:14]
	v_mov_b32_e32 v26, v28
	v_lshlrev_b64 v[17:18], 4, v[23:24]
	v_mov_b32_e32 v28, v29
	v_fma_f64 v[13:14], v[21:22], 2.0, -v[5:6]
	v_fma_f64 v[15:16], v[11:12], 2.0, -v[7:8]
	;; [unrolled: 1-line block ×3, first 2 shown]
	v_lshlrev_b64 v[19:20], 4, v[25:26]
	v_add_co_u32 v23, vcc_lo, v61, v30
	v_add_co_ci_u32_e32 v24, vcc_lo, v62, v31, vcc_lo
	v_lshlrev_b64 v[21:22], 4, v[27:28]
	v_add_co_u32 v17, vcc_lo, v61, v17
	v_add_co_ci_u32_e32 v18, vcc_lo, v62, v18, vcc_lo
	v_add_co_u32 v19, vcc_lo, v61, v19
	v_add_co_ci_u32_e32 v20, vcc_lo, v62, v20, vcc_lo
	;; [unrolled: 2-line block ×3, first 2 shown]
	global_store_dwordx4 v[23:24], v[13:16], off
	global_store_dwordx4 v[17:18], v[9:12], off
	;; [unrolled: 1-line block ×4, first 2 shown]
	s_endpgm
	.section	.rodata,"a",@progbits
	.p2align	6, 0x0
	.amdhsa_kernel fft_rtc_fwd_len160_factors_4_10_4_wgs_192_tpt_16_dp_op_CI_CI_sbcc_dirReg
		.amdhsa_group_segment_fixed_size 0
		.amdhsa_private_segment_fixed_size 0
		.amdhsa_kernarg_size 112
		.amdhsa_user_sgpr_count 6
		.amdhsa_user_sgpr_private_segment_buffer 1
		.amdhsa_user_sgpr_dispatch_ptr 0
		.amdhsa_user_sgpr_queue_ptr 0
		.amdhsa_user_sgpr_kernarg_segment_ptr 1
		.amdhsa_user_sgpr_dispatch_id 0
		.amdhsa_user_sgpr_flat_scratch_init 0
		.amdhsa_user_sgpr_private_segment_size 0
		.amdhsa_wavefront_size32 1
		.amdhsa_uses_dynamic_stack 0
		.amdhsa_system_sgpr_private_segment_wavefront_offset 0
		.amdhsa_system_sgpr_workgroup_id_x 1
		.amdhsa_system_sgpr_workgroup_id_y 0
		.amdhsa_system_sgpr_workgroup_id_z 0
		.amdhsa_system_sgpr_workgroup_info 0
		.amdhsa_system_vgpr_workitem_id 0
		.amdhsa_next_free_vgpr 120
		.amdhsa_next_free_sgpr 57
		.amdhsa_reserve_vcc 1
		.amdhsa_reserve_flat_scratch 0
		.amdhsa_float_round_mode_32 0
		.amdhsa_float_round_mode_16_64 0
		.amdhsa_float_denorm_mode_32 3
		.amdhsa_float_denorm_mode_16_64 3
		.amdhsa_dx10_clamp 1
		.amdhsa_ieee_mode 1
		.amdhsa_fp16_overflow 0
		.amdhsa_workgroup_processor_mode 1
		.amdhsa_memory_ordered 1
		.amdhsa_forward_progress 0
		.amdhsa_shared_vgpr_count 0
		.amdhsa_exception_fp_ieee_invalid_op 0
		.amdhsa_exception_fp_denorm_src 0
		.amdhsa_exception_fp_ieee_div_zero 0
		.amdhsa_exception_fp_ieee_overflow 0
		.amdhsa_exception_fp_ieee_underflow 0
		.amdhsa_exception_fp_ieee_inexact 0
		.amdhsa_exception_int_div_zero 0
	.end_amdhsa_kernel
	.text
.Lfunc_end0:
	.size	fft_rtc_fwd_len160_factors_4_10_4_wgs_192_tpt_16_dp_op_CI_CI_sbcc_dirReg, .Lfunc_end0-fft_rtc_fwd_len160_factors_4_10_4_wgs_192_tpt_16_dp_op_CI_CI_sbcc_dirReg
                                        ; -- End function
	.section	.AMDGPU.csdata,"",@progbits
; Kernel info:
; codeLenInByte = 8156
; NumSgprs: 59
; NumVgprs: 120
; ScratchSize: 0
; MemoryBound: 1
; FloatMode: 240
; IeeeMode: 1
; LDSByteSize: 0 bytes/workgroup (compile time only)
; SGPRBlocks: 7
; VGPRBlocks: 14
; NumSGPRsForWavesPerEU: 59
; NumVGPRsForWavesPerEU: 120
; Occupancy: 8
; WaveLimiterHint : 1
; COMPUTE_PGM_RSRC2:SCRATCH_EN: 0
; COMPUTE_PGM_RSRC2:USER_SGPR: 6
; COMPUTE_PGM_RSRC2:TRAP_HANDLER: 0
; COMPUTE_PGM_RSRC2:TGID_X_EN: 1
; COMPUTE_PGM_RSRC2:TGID_Y_EN: 0
; COMPUTE_PGM_RSRC2:TGID_Z_EN: 0
; COMPUTE_PGM_RSRC2:TIDIG_COMP_CNT: 0
	.text
	.p2alignl 6, 3214868480
	.fill 48, 4, 3214868480
	.type	__hip_cuid_caf3f758acf50958,@object ; @__hip_cuid_caf3f758acf50958
	.section	.bss,"aw",@nobits
	.globl	__hip_cuid_caf3f758acf50958
__hip_cuid_caf3f758acf50958:
	.byte	0                               ; 0x0
	.size	__hip_cuid_caf3f758acf50958, 1

	.ident	"AMD clang version 19.0.0git (https://github.com/RadeonOpenCompute/llvm-project roc-6.4.0 25133 c7fe45cf4b819c5991fe208aaa96edf142730f1d)"
	.section	".note.GNU-stack","",@progbits
	.addrsig
	.addrsig_sym __hip_cuid_caf3f758acf50958
	.amdgpu_metadata
---
amdhsa.kernels:
  - .args:
      - .actual_access:  read_only
        .address_space:  global
        .offset:         0
        .size:           8
        .value_kind:     global_buffer
      - .address_space:  global
        .offset:         8
        .size:           8
        .value_kind:     global_buffer
      - .offset:         16
        .size:           8
        .value_kind:     by_value
      - .actual_access:  read_only
        .address_space:  global
        .offset:         24
        .size:           8
        .value_kind:     global_buffer
      - .actual_access:  read_only
        .address_space:  global
        .offset:         32
        .size:           8
        .value_kind:     global_buffer
      - .actual_access:  read_only
        .address_space:  global
        .offset:         40
        .size:           8
        .value_kind:     global_buffer
      - .offset:         48
        .size:           8
        .value_kind:     by_value
      - .actual_access:  read_only
        .address_space:  global
        .offset:         56
        .size:           8
        .value_kind:     global_buffer
      - .actual_access:  read_only
        .address_space:  global
        .offset:         64
        .size:           8
        .value_kind:     global_buffer
      - .offset:         72
        .size:           4
        .value_kind:     by_value
      - .actual_access:  read_only
        .address_space:  global
        .offset:         80
        .size:           8
        .value_kind:     global_buffer
      - .actual_access:  read_only
        .address_space:  global
        .offset:         88
        .size:           8
        .value_kind:     global_buffer
      - .actual_access:  read_only
        .address_space:  global
        .offset:         96
        .size:           8
        .value_kind:     global_buffer
      - .actual_access:  write_only
        .address_space:  global
        .offset:         104
        .size:           8
        .value_kind:     global_buffer
    .group_segment_fixed_size: 0
    .kernarg_segment_align: 8
    .kernarg_segment_size: 112
    .language:       OpenCL C
    .language_version:
      - 2
      - 0
    .max_flat_workgroup_size: 192
    .name:           fft_rtc_fwd_len160_factors_4_10_4_wgs_192_tpt_16_dp_op_CI_CI_sbcc_dirReg
    .private_segment_fixed_size: 0
    .sgpr_count:     59
    .sgpr_spill_count: 0
    .symbol:         fft_rtc_fwd_len160_factors_4_10_4_wgs_192_tpt_16_dp_op_CI_CI_sbcc_dirReg.kd
    .uniform_work_group_size: 1
    .uses_dynamic_stack: false
    .vgpr_count:     120
    .vgpr_spill_count: 0
    .wavefront_size: 32
    .workgroup_processor_mode: 1
amdhsa.target:   amdgcn-amd-amdhsa--gfx1030
amdhsa.version:
  - 1
  - 2
...

	.end_amdgpu_metadata
